;; amdgpu-corpus repo=ROCm/rocFFT kind=compiled arch=gfx950 opt=O3
	.text
	.amdgcn_target "amdgcn-amd-amdhsa--gfx950"
	.amdhsa_code_object_version 6
	.protected	fft_rtc_back_len256_factors_8_2_16_wgs_256_tpt_16_dim3_sp_op_CI_CI_unitstride_sbrc_xy_z_aligned_dirReg ; -- Begin function fft_rtc_back_len256_factors_8_2_16_wgs_256_tpt_16_dim3_sp_op_CI_CI_unitstride_sbrc_xy_z_aligned_dirReg
	.globl	fft_rtc_back_len256_factors_8_2_16_wgs_256_tpt_16_dim3_sp_op_CI_CI_unitstride_sbrc_xy_z_aligned_dirReg
	.p2align	8
	.type	fft_rtc_back_len256_factors_8_2_16_wgs_256_tpt_16_dim3_sp_op_CI_CI_unitstride_sbrc_xy_z_aligned_dirReg,@function
fft_rtc_back_len256_factors_8_2_16_wgs_256_tpt_16_dim3_sp_op_CI_CI_unitstride_sbrc_xy_z_aligned_dirReg: ; @fft_rtc_back_len256_factors_8_2_16_wgs_256_tpt_16_dim3_sp_op_CI_CI_unitstride_sbrc_xy_z_aligned_dirReg
; %bb.0:
	s_load_dwordx8 s[4:11], s[0:1], 0x0
	s_load_dwordx4 s[12:15], s[0:1], 0x50
	s_waitcnt lgkmcnt(0)
	s_load_dwordx4 s[24:27], s[6:7], 0x8
	s_mov_b64 s[6:7], 0
	s_waitcnt lgkmcnt(0)
	s_add_i32 s3, s26, -1
	s_lshr_b32 s3, s3, 4
	s_add_i32 s3, s3, 1
	s_mul_i32 s16, s3, s24
	v_cvt_f32_u32_e32 v1, s16
	s_sub_i32 s0, 0, s16
	s_mov_b32 s3, 0
	s_mov_b32 s1, s3
	v_rcp_iflag_f32_e32 v1, v1
	v_mov_b64_e32 v[2:3], s[24:25]
	v_mul_f32_e32 v1, 0x4f7ffffe, v1
	v_cvt_u32_f32_e32 v1, v1
	s_nop 0
	v_readfirstlane_b32 s7, v1
	s_mul_i32 s0, s0, s7
	s_mul_hi_u32 s0, s7, s0
	s_add_i32 s7, s7, s0
	s_mul_hi_u32 s0, s2, s7
	s_mul_i32 s7, s0, s16
	s_sub_i32 s7, s2, s7
	s_add_i32 s17, s0, 1
	s_sub_i32 s18, s7, s16
	s_cmp_ge_u32 s7, s16
	s_cselect_b32 s0, s17, s0
	s_cselect_b32 s7, s18, s7
	s_add_i32 s17, s0, 1
	s_cmp_ge_u32 s7, s16
	s_cselect_b32 s26, s17, s0
	s_mul_i32 s0, s26, s16
	v_cvt_f32_u32_e32 v1, s24
	s_sub_i32 s0, s2, s0
	v_cmp_lt_u64_e32 vcc, s[0:1], v[2:3]
	s_cbranch_vccnz .LBB0_2
; %bb.1:
	v_rcp_iflag_f32_e32 v2, v1
	s_sub_i32 s1, 0, s24
	v_mul_f32_e32 v2, 0x4f7ffffe, v2
	v_cvt_u32_f32_e32 v2, v2
	s_nop 0
	v_readfirstlane_b32 s6, v2
	s_mul_i32 s1, s1, s6
	s_mul_hi_u32 s1, s6, s1
	s_add_i32 s6, s6, s1
	s_mul_hi_u32 s1, s0, s6
	s_mul_i32 s7, s1, s24
	s_sub_i32 s0, s0, s7
	s_add_i32 s6, s1, 1
	s_sub_i32 s7, s0, s24
	s_cmp_ge_u32 s0, s24
	s_cselect_b32 s1, s6, s1
	s_cselect_b32 s0, s7, s0
	s_add_i32 s6, s1, 1
	s_cmp_ge_u32 s0, s24
	s_cselect_b32 s6, s6, s1
.LBB0_2:
	s_load_dwordx4 s[20:23], s[8:9], 0x8
	s_load_dwordx4 s[16:19], s[10:11], 0x8
	v_mov_b64_e32 v[2:3], s[24:25]
	v_cmp_lt_u64_e32 vcc, s[2:3], v[2:3]
	s_cbranch_vccnz .LBB0_4
; %bb.3:
	v_rcp_iflag_f32_e32 v1, v1
	s_sub_i32 s0, 0, s24
	v_mul_f32_e32 v1, 0x4f7ffffe, v1
	v_cvt_u32_f32_e32 v1, v1
	s_nop 0
	v_readfirstlane_b32 s1, v1
	s_mul_i32 s0, s0, s1
	s_mul_hi_u32 s0, s1, s0
	s_add_i32 s1, s1, s0
	s_mul_hi_u32 s0, s2, s1
	s_mul_i32 s0, s0, s24
	s_sub_i32 s0, s2, s0
	s_sub_i32 s1, s0, s24
	s_cmp_ge_u32 s0, s24
	s_cselect_b32 s0, s1, s0
	s_sub_i32 s1, s0, s24
	s_cmp_ge_u32 s0, s24
	s_cselect_b32 s2, s1, s0
.LBB0_4:
	s_load_dwordx2 s[8:9], s[8:9], 0x18
	s_waitcnt lgkmcnt(0)
	s_lshl_b32 s17, s6, 4
	s_load_dwordx2 s[6:7], s[10:11], 0x18
	s_mul_i32 s0, s2, s20
	s_mul_i32 s1, s17, s22
	;; [unrolled: 1-line block ×3, first 2 shown]
	s_mul_hi_u32 s9, s8, s26
	s_add_i32 s9, s9, s3
	s_mul_i32 s8, s8, s26
	s_waitcnt lgkmcnt(0)
	s_mul_i32 s3, s7, s26
	s_mul_hi_u32 s7, s6, s26
	s_add_i32 s0, s0, s1
	s_add_i32 s3, s7, s3
	s_lshl_b64 s[8:9], s[8:9], 3
	s_mov_b32 s1, 0
	s_add_u32 s7, s12, s8
	s_addc_u32 s10, s13, s9
	s_lshl_b64 s[8:9], s[0:1], 3
	s_add_u32 s8, s7, s8
	s_addc_u32 s9, s10, s9
	v_lshlrev_b32_e32 v2, 3, v0
	v_mov_b32_e32 v3, 0
	v_lshl_add_u64 v[4:5], s[8:9], 0, v[2:3]
	s_add_i32 s0, s22, s22
	v_lshl_add_u64 v[10:11], s[0:1], 3, v[4:5]
	s_add_i32 s0, s0, s22
	s_mov_b32 s23, s1
	v_lshl_add_u64 v[12:13], s[0:1], 3, v[4:5]
	s_add_i32 s0, s0, s22
	v_lshl_add_u64 v[6:7], s[22:23], 3, v[4:5]
	v_lshl_add_u64 v[14:15], s[0:1], 3, v[4:5]
	s_add_i32 s0, s0, s22
	global_load_dwordx2 v[8:9], v2, s[8:9]
	global_load_dwordx2 v[16:17], v[6:7], off
	global_load_dwordx2 v[18:19], v[10:11], off
	;; [unrolled: 1-line block ×4, first 2 shown]
	v_lshl_add_u64 v[6:7], s[0:1], 3, v[4:5]
	s_add_i32 s0, s0, s22
	v_lshl_add_u64 v[10:11], s[0:1], 3, v[4:5]
	s_add_i32 s0, s0, s22
	;; [unrolled: 2-line block ×4, first 2 shown]
	global_load_dwordx2 v[24:25], v[6:7], off
	global_load_dwordx2 v[26:27], v[10:11], off
	global_load_dwordx2 v[28:29], v[12:13], off
	global_load_dwordx2 v[30:31], v[14:15], off
	v_lshl_add_u64 v[6:7], s[0:1], 3, v[4:5]
	s_add_i32 s0, s0, s22
	v_lshl_add_u64 v[10:11], s[0:1], 3, v[4:5]
	s_add_i32 s0, s0, s22
	;; [unrolled: 2-line block ×4, first 2 shown]
	global_load_dwordx2 v[32:33], v[6:7], off
	global_load_dwordx2 v[34:35], v[10:11], off
	;; [unrolled: 1-line block ×4, first 2 shown]
	v_lshl_add_u64 v[6:7], s[0:1], 3, v[4:5]
	s_add_i32 s0, s0, s22
	v_lshl_add_u64 v[10:11], s[0:1], 3, v[4:5]
	global_load_dwordx2 v[12:13], v[6:7], off
	global_load_dwordx2 v[14:15], v[10:11], off
	s_add_i32 s0, s0, s22
	v_lshl_add_u64 v[4:5], s[0:1], 3, v[4:5]
	global_load_dwordx2 v[4:5], v[4:5], off
	v_and_b32_e32 v2, 15, v0
	v_lshrrev_b32_e32 v7, 4, v0
	v_lshlrev_b32_e32 v6, 7, v7
	v_lshlrev_b32_e32 v42, 3, v2
	v_lshl_add_u32 v1, v0, 7, 0
	v_add3_u32 v6, 0, v6, v42
	s_movk_i32 s0, 0x380
	s_movk_i32 s7, 0xfc80
	;; [unrolled: 1-line block ×3, first 2 shown]
	v_or_b32_e32 v2, s17, v2
	v_mul_lo_u32 v66, v7, s16
	v_mov_b32_e32 v67, v3
	s_waitcnt vmcnt(14)
	ds_write2_b64 v1, v[8:9], v[16:17] offset1:1
	s_waitcnt vmcnt(12)
	ds_write2_b64 v1, v[18:19], v[20:21] offset0:2 offset1:3
	s_waitcnt vmcnt(10)
	ds_write2_b64 v1, v[22:23], v[24:25] offset0:4 offset1:5
	;; [unrolled: 2-line block ×7, first 2 shown]
	s_waitcnt lgkmcnt(0)
	s_barrier
	ds_read2st64_b64 v[8:11], v6 offset1:4
	ds_read2st64_b64 v[12:15], v6 offset0:8 offset1:12
	ds_read2st64_b64 v[16:19], v6 offset0:16 offset1:20
	;; [unrolled: 1-line block ×7, first 2 shown]
	v_mad_u32_u24 v1, v7, s0, v6
	s_waitcnt lgkmcnt(3)
	v_pk_add_f32 v[4:5], v[8:9], v[24:25] neg_lo:[0,1] neg_hi:[0,1]
	s_waitcnt lgkmcnt(2)
	v_pk_add_f32 v[24:25], v[16:17], v[28:29] neg_lo:[0,1] neg_hi:[0,1]
	s_waitcnt lgkmcnt(1)
	v_pk_add_f32 v[28:29], v[12:13], v[32:33] neg_lo:[0,1] neg_hi:[0,1]
	s_waitcnt lgkmcnt(0)
	v_pk_add_f32 v[32:33], v[20:21], v[36:37] neg_lo:[0,1] neg_hi:[0,1]
	v_pk_fma_f32 v[16:17], v[16:17], 2.0, v[24:25] op_sel_hi:[1,0,1] neg_lo:[0,0,1] neg_hi:[0,0,1]
	v_pk_fma_f32 v[20:21], v[20:21], 2.0, v[32:33] op_sel_hi:[1,0,1] neg_lo:[0,0,1] neg_hi:[0,0,1]
	v_pk_add_f32 v[36:37], v[4:5], v[24:25] op_sel:[0,1] op_sel_hi:[1,0]
	v_pk_add_f32 v[24:25], v[4:5], v[24:25] op_sel:[0,1] op_sel_hi:[1,0] neg_lo:[0,1] neg_hi:[0,1]
	v_pk_add_f32 v[40:41], v[28:29], v[32:33] op_sel:[0,1] op_sel_hi:[1,0]
	v_pk_add_f32 v[32:33], v[28:29], v[32:33] op_sel:[0,1] op_sel_hi:[1,0] neg_lo:[0,1] neg_hi:[0,1]
	v_mov_b32_e32 v37, v25
	v_mov_b32_e32 v41, v33
	v_pk_fma_f32 v[8:9], v[8:9], 2.0, v[4:5] op_sel_hi:[1,0,1] neg_lo:[0,0,1] neg_hi:[0,0,1]
	v_pk_fma_f32 v[4:5], v[4:5], 2.0, v[36:37] op_sel_hi:[1,0,1] neg_lo:[0,0,1] neg_hi:[0,0,1]
	;; [unrolled: 1-line block ×3, first 2 shown]
	s_mov_b32 s0, 0x3f3504f3
	v_pk_fma_f32 v[12:13], v[12:13], 2.0, v[28:29] op_sel_hi:[1,0,1] neg_lo:[0,0,1] neg_hi:[0,0,1]
	v_pk_mul_f32 v[28:29], v[24:25], s[0:1] op_sel_hi:[1,0]
	v_pk_fma_f32 v[24:25], v[24:25], s[0:1], v[4:5] op_sel_hi:[1,0,1] neg_lo:[1,0,0] neg_hi:[1,0,0]
	v_pk_add_f32 v[16:17], v[8:9], v[16:17] neg_lo:[0,1] neg_hi:[0,1]
	v_pk_add_f32 v[20:21], v[12:13], v[20:21] neg_lo:[0,1] neg_hi:[0,1]
	v_pk_add_f32 v[32:33], v[24:25], v[28:29] op_sel:[0,1] op_sel_hi:[1,0]
	v_pk_add_f32 v[24:25], v[24:25], v[28:29] op_sel:[0,1] op_sel_hi:[1,0] neg_lo:[0,1] neg_hi:[0,1]
	v_pk_fma_f32 v[12:13], v[12:13], 2.0, v[20:21] op_sel_hi:[1,0,1] neg_lo:[0,0,1] neg_hi:[0,0,1]
	v_mov_b32_e32 v33, v25
	v_pk_add_f32 v[24:25], v[16:17], v[20:21] op_sel:[0,1] op_sel_hi:[1,0]
	v_pk_add_f32 v[20:21], v[16:17], v[20:21] op_sel:[0,1] op_sel_hi:[1,0] neg_lo:[0,1] neg_hi:[0,1]
	v_pk_fma_f32 v[28:29], v[40:41], s[0:1], v[36:37] op_sel_hi:[1,0,1]
	v_mov_b32_e32 v25, v21
	v_pk_mul_f32 v[20:21], v[40:41], s[0:1] op_sel_hi:[1,0]
	v_pk_fma_f32 v[8:9], v[8:9], 2.0, v[16:17] op_sel_hi:[1,0,1] neg_lo:[0,0,1] neg_hi:[0,0,1]
	v_pk_add_f32 v[40:41], v[28:29], v[20:21] op_sel:[0,1] op_sel_hi:[1,0]
	v_pk_add_f32 v[20:21], v[28:29], v[20:21] op_sel:[0,1] op_sel_hi:[1,0] neg_lo:[0,1] neg_hi:[0,1]
	v_pk_add_f32 v[12:13], v[8:9], v[12:13] neg_lo:[0,1] neg_hi:[0,1]
	v_mov_b32_e32 v41, v21
	v_pk_fma_f32 v[20:21], v[36:37], 2.0, v[40:41] op_sel_hi:[1,0,1] neg_lo:[0,0,1] neg_hi:[0,0,1]
	v_or_b32_e32 v36, 16, v7
	v_lshlrev_b32_e32 v28, 10, v36
	v_pk_fma_f32 v[8:9], v[8:9], 2.0, v[12:13] op_sel_hi:[1,0,1] neg_lo:[0,0,1] neg_hi:[0,0,1]
	v_pk_fma_f32 v[4:5], v[4:5], 2.0, v[32:33] op_sel_hi:[1,0,1] neg_lo:[0,0,1] neg_hi:[0,0,1]
	;; [unrolled: 1-line block ×3, first 2 shown]
	v_add3_u32 v37, 0, v28, v42
	v_pk_add_f32 v[26:27], v[10:11], v[26:27] neg_lo:[0,1] neg_hi:[0,1]
	v_pk_add_f32 v[28:29], v[18:19], v[30:31] neg_lo:[0,1] neg_hi:[0,1]
	v_pk_add_f32 v[30:31], v[14:15], v[34:35] neg_lo:[0,1] neg_hi:[0,1]
	v_pk_add_f32 v[34:35], v[22:23], v[38:39] neg_lo:[0,1] neg_hi:[0,1]
	s_barrier
	ds_write2_b64 v1, v[8:9], v[4:5] offset1:16
	ds_write2_b64 v1, v[16:17], v[20:21] offset0:32 offset1:48
	ds_write2_b64 v1, v[12:13], v[32:33] offset0:64 offset1:80
	;; [unrolled: 1-line block ×3, first 2 shown]
	v_pk_add_f32 v[4:5], v[26:27], v[28:29] op_sel:[0,1] op_sel_hi:[1,0]
	v_pk_add_f32 v[8:9], v[26:27], v[28:29] op_sel:[0,1] op_sel_hi:[1,0] neg_lo:[0,1] neg_hi:[0,1]
	v_pk_add_f32 v[12:13], v[30:31], v[34:35] op_sel:[0,1] op_sel_hi:[1,0]
	v_pk_add_f32 v[16:17], v[30:31], v[34:35] op_sel:[0,1] op_sel_hi:[1,0] neg_lo:[0,1] neg_hi:[0,1]
	v_mov_b32_e32 v5, v9
	v_mov_b32_e32 v13, v17
	v_pk_fma_f32 v[10:11], v[10:11], 2.0, v[26:27] op_sel_hi:[1,0,1] neg_lo:[0,0,1] neg_hi:[0,0,1]
	v_pk_fma_f32 v[18:19], v[18:19], 2.0, v[28:29] op_sel_hi:[1,0,1] neg_lo:[0,0,1] neg_hi:[0,0,1]
	;; [unrolled: 1-line block ×6, first 2 shown]
	v_pk_add_f32 v[18:19], v[10:11], v[18:19] neg_lo:[0,1] neg_hi:[0,1]
	v_pk_add_f32 v[22:23], v[14:15], v[22:23] neg_lo:[0,1] neg_hi:[0,1]
	v_pk_mul_f32 v[20:21], v[16:17], s[0:1] op_sel_hi:[1,0]
	v_pk_fma_f32 v[16:17], v[16:17], s[0:1], v[8:9] op_sel_hi:[1,0,1] neg_lo:[1,0,0] neg_hi:[1,0,0]
	v_pk_fma_f32 v[10:11], v[10:11], 2.0, v[18:19] op_sel_hi:[1,0,1] neg_lo:[0,0,1] neg_hi:[0,0,1]
	v_pk_fma_f32 v[14:15], v[14:15], 2.0, v[22:23] op_sel_hi:[1,0,1] neg_lo:[0,0,1] neg_hi:[0,0,1]
	v_pk_add_f32 v[24:25], v[16:17], v[20:21] op_sel:[0,1] op_sel_hi:[1,0]
	v_pk_add_f32 v[16:17], v[16:17], v[20:21] op_sel:[0,1] op_sel_hi:[1,0] neg_lo:[0,1] neg_hi:[0,1]
	v_pk_add_f32 v[14:15], v[10:11], v[14:15] neg_lo:[0,1] neg_hi:[0,1]
	v_mov_b32_e32 v25, v17
	v_pk_fma_f32 v[10:11], v[10:11], 2.0, v[14:15] op_sel_hi:[1,0,1] neg_lo:[0,0,1] neg_hi:[0,0,1]
	v_pk_fma_f32 v[8:9], v[8:9], 2.0, v[24:25] op_sel_hi:[1,0,1] neg_lo:[0,0,1] neg_hi:[0,0,1]
	ds_write2_b64 v37, v[10:11], v[8:9] offset1:16
	v_pk_add_f32 v[8:9], v[18:19], v[22:23] op_sel:[0,1] op_sel_hi:[1,0]
	v_pk_add_f32 v[10:11], v[18:19], v[22:23] op_sel:[0,1] op_sel_hi:[1,0] neg_lo:[0,1] neg_hi:[0,1]
	v_pk_mul_f32 v[16:17], v[12:13], s[0:1] op_sel_hi:[1,0]
	v_mov_b32_e32 v9, v11
	v_pk_fma_f32 v[12:13], v[12:13], s[0:1], v[4:5] op_sel_hi:[1,0,1]
	v_pk_fma_f32 v[10:11], v[18:19], 2.0, v[8:9] op_sel_hi:[1,0,1] neg_lo:[0,0,1] neg_hi:[0,0,1]
	v_pk_add_f32 v[18:19], v[12:13], v[16:17] op_sel:[0,1] op_sel_hi:[1,0]
	v_pk_add_f32 v[12:13], v[12:13], v[16:17] op_sel:[0,1] op_sel_hi:[1,0] neg_lo:[0,1] neg_hi:[0,1]
	v_bfe_u32 v1, v0, 4, 3
	v_mov_b32_e32 v19, v13
	v_pk_fma_f32 v[4:5], v[4:5], 2.0, v[18:19] op_sel_hi:[1,0,1] neg_lo:[0,0,1] neg_hi:[0,0,1]
	ds_write2_b64 v37, v[10:11], v[4:5] offset0:32 offset1:48
	ds_write2_b64 v37, v[14:15], v[24:25] offset0:64 offset1:80
	;; [unrolled: 1-line block ×3, first 2 shown]
	v_lshlrev_b32_e32 v4, 3, v1
	s_waitcnt lgkmcnt(0)
	s_barrier
	global_load_dwordx2 v[4:5], v4, s[4:5]
	v_lshrrev_b32_e32 v0, 3, v0
	v_and_or_b32 v0, v0, 16, v1
	v_lshlrev_b32_e32 v0, 7, v0
	v_add3_u32 v48, 0, v0, v42
	v_lshlrev_b32_e32 v0, 1, v36
	v_and_or_b32 v0, v0, 48, v1
	v_or_b32_e32 v26, 32, v7
	v_lshlrev_b32_e32 v0, 7, v0
	v_mad_i32_i24 v62, v36, s7, v37
	s_movk_i32 s7, 0x50
	v_add3_u32 v49, 0, v0, v42
	v_lshlrev_b32_e32 v0, 1, v26
	v_and_or_b32 v0, v0, s7, v1
	v_or_b32_e32 v27, 48, v7
	v_lshlrev_b32_e32 v0, 7, v0
	v_add3_u32 v50, 0, v0, v42
	v_lshlrev_b32_e32 v0, 1, v27
	v_and_or_b32 v0, v0, s8, v1
	v_or_b32_e32 v28, 64, v7
	v_lshlrev_b32_e32 v0, 7, v0
	v_add3_u32 v51, 0, v0, v42
	v_lshlrev_b32_e32 v0, 1, v28
	s_movk_i32 s7, 0x90
	v_and_or_b32 v0, v0, s7, v1
	v_or_b32_e32 v29, 0x50, v7
	v_lshlrev_b32_e32 v0, 7, v0
	v_or_b32_e32 v30, 0x60, v7
	v_add3_u32 v52, 0, v0, v42
	v_lshlrev_b32_e32 v0, 1, v29
	s_movk_i32 s7, 0xb0
	v_lshlrev_b32_e32 v24, 7, v30
	v_or_b32_e32 v31, 0x70, v7
	v_and_or_b32 v0, v0, s7, v1
	v_add3_u32 v46, 0, v24, v42
	v_lshlrev_b32_e32 v24, 7, v31
	v_lshlrev_b32_e32 v0, 7, v0
	v_add3_u32 v47, 0, v24, v42
	v_add_u32_e32 v24, 0x7800, v6
	v_add3_u32 v53, 0, v0, v42
	v_lshlrev_b32_e32 v0, 1, v30
	s_movk_i32 s7, 0xd0
	ds_read2_b32 v[24:25], v24 offset1:1
	v_and_or_b32 v0, v0, s7, v1
	v_lshlrev_b32_e32 v0, 7, v0
	v_lshlrev_b32_e32 v20, 7, v28
	v_add3_u32 v54, 0, v0, v42
	v_lshlrev_b32_e32 v0, 1, v31
	s_movk_i32 s7, 0xf0
	v_lshlrev_b32_e32 v16, 7, v26
	v_add3_u32 v44, 0, v20, v42
	v_lshlrev_b32_e32 v20, 7, v29
	v_and_or_b32 v0, v0, s7, v1
	v_add3_u32 v60, 0, v16, v42
	v_lshlrev_b32_e32 v16, 7, v27
	v_add3_u32 v45, 0, v20, v42
	ds_read2st64_b64 v[20:23], v6 offset0:52 offset1:56
	v_lshlrev_b32_e32 v0, 7, v0
	ds_read_b64 v[26:27], v47
	v_add3_u32 v43, 0, v16, v42
	v_add3_u32 v42, 0, v0, v42
	s_waitcnt lgkmcnt(2)
	v_mov_b32_e32 v0, v25
	ds_read2st64_b64 v[16:19], v6 offset0:44 offset1:48
	ds_read2st64_b64 v[12:15], v6 offset0:36 offset1:40
	ds_read2st64_b64 v[8:11], v6 offset1:32
	s_waitcnt vmcnt(0)
	v_pk_mul_f32 v[0:1], v[0:1], v[4:5] op_sel_hi:[0,1]
	v_pk_fma_f32 v[28:29], v[4:5], v[24:25], v[0:1] op_sel:[0,0,1] op_sel_hi:[1,1,0]
	v_pk_fma_f32 v[0:1], v[4:5], v[24:25], v[0:1] op_sel:[0,0,1] op_sel_hi:[1,0,0] neg_lo:[1,0,0] neg_hi:[1,0,0]
	s_nop 0
	v_mov_b32_e32 v29, v1
	ds_read_b64 v[0:1], v46
	s_waitcnt lgkmcnt(4)
	v_pk_add_f32 v[24:25], v[26:27], v[28:29] neg_lo:[0,1] neg_hi:[0,1]
	v_pk_mul_f32 v[28:29], v[4:5], v[22:23] op_sel:[0,1]
	v_pk_fma_f32 v[26:27], v[26:27], 2.0, v[24:25] op_sel_hi:[1,0,1] neg_lo:[0,0,1] neg_hi:[0,0,1]
	v_pk_fma_f32 v[30:31], v[4:5], v[22:23], v[28:29] op_sel:[0,0,1] op_sel_hi:[1,1,0]
	v_pk_fma_f32 v[22:23], v[4:5], v[22:23], v[28:29] op_sel:[0,0,1] op_sel_hi:[1,0,0] neg_lo:[1,0,0] neg_hi:[1,0,0]
	s_nop 0
	v_mov_b32_e32 v31, v23
	ds_read_b64 v[22:23], v45
	s_waitcnt lgkmcnt(1)
	v_pk_add_f32 v[28:29], v[0:1], v[30:31] neg_lo:[0,1] neg_hi:[0,1]
	v_pk_mul_f32 v[30:31], v[4:5], v[20:21] op_sel:[0,1]
	v_pk_fma_f32 v[0:1], v[0:1], 2.0, v[28:29] op_sel_hi:[1,0,1] neg_lo:[0,0,1] neg_hi:[0,0,1]
	v_pk_fma_f32 v[32:33], v[4:5], v[20:21], v[30:31] op_sel:[0,0,1] op_sel_hi:[1,1,0]
	v_pk_fma_f32 v[20:21], v[4:5], v[20:21], v[30:31] op_sel:[0,0,1] op_sel_hi:[1,0,0] neg_lo:[1,0,0] neg_hi:[1,0,0]
	v_pk_mul_f32 v[30:31], v[4:5], v[18:19] op_sel:[0,1]
	v_mov_b32_e32 v33, v21
	s_waitcnt lgkmcnt(0)
	v_pk_add_f32 v[20:21], v[22:23], v[32:33] neg_lo:[0,1] neg_hi:[0,1]
	ds_read_b64 v[32:33], v44
	v_pk_fma_f32 v[34:35], v[4:5], v[18:19], v[30:31] op_sel:[0,0,1] op_sel_hi:[1,1,0]
	v_pk_fma_f32 v[18:19], v[4:5], v[18:19], v[30:31] op_sel:[0,0,1] op_sel_hi:[1,0,0] neg_lo:[1,0,0] neg_hi:[1,0,0]
	v_pk_fma_f32 v[22:23], v[22:23], 2.0, v[20:21] op_sel_hi:[1,0,1] neg_lo:[0,0,1] neg_hi:[0,0,1]
	v_mov_b32_e32 v35, v19
	ds_read_b64 v[18:19], v43
	s_waitcnt lgkmcnt(1)
	v_pk_add_f32 v[30:31], v[32:33], v[34:35] neg_lo:[0,1] neg_hi:[0,1]
	v_pk_mul_f32 v[34:35], v[4:5], v[16:17] op_sel:[0,1]
	v_pk_fma_f32 v[32:33], v[32:33], 2.0, v[30:31] op_sel_hi:[1,0,1] neg_lo:[0,0,1] neg_hi:[0,0,1]
	v_pk_fma_f32 v[36:37], v[4:5], v[16:17], v[34:35] op_sel:[0,0,1] op_sel_hi:[1,1,0]
	v_pk_fma_f32 v[16:17], v[4:5], v[16:17], v[34:35] op_sel:[0,0,1] op_sel_hi:[1,0,0] neg_lo:[1,0,0] neg_hi:[1,0,0]
	s_nop 0
	v_mov_b32_e32 v37, v17
	ds_read_b64 v[16:17], v60
	s_waitcnt lgkmcnt(1)
	v_pk_add_f32 v[34:35], v[18:19], v[36:37] neg_lo:[0,1] neg_hi:[0,1]
	v_pk_mul_f32 v[36:37], v[4:5], v[14:15] op_sel:[0,1]
	v_pk_fma_f32 v[18:19], v[18:19], 2.0, v[34:35] op_sel_hi:[1,0,1] neg_lo:[0,0,1] neg_hi:[0,0,1]
	v_pk_fma_f32 v[38:39], v[4:5], v[14:15], v[36:37] op_sel:[0,0,1] op_sel_hi:[1,1,0]
	v_pk_fma_f32 v[14:15], v[4:5], v[14:15], v[36:37] op_sel:[0,0,1] op_sel_hi:[1,0,0] neg_lo:[1,0,0] neg_hi:[1,0,0]
	s_nop 0
	v_mov_b32_e32 v39, v15
	ds_read_b64 v[14:15], v62
	s_waitcnt lgkmcnt(1)
	v_pk_add_f32 v[36:37], v[16:17], v[38:39] neg_lo:[0,1] neg_hi:[0,1]
	v_pk_mul_f32 v[38:39], v[4:5], v[12:13] op_sel:[0,1]
	v_pk_fma_f32 v[16:17], v[16:17], 2.0, v[36:37] op_sel_hi:[1,0,1] neg_lo:[0,0,1] neg_hi:[0,0,1]
	v_pk_fma_f32 v[40:41], v[4:5], v[12:13], v[38:39] op_sel:[0,0,1] op_sel_hi:[1,1,0]
	v_pk_fma_f32 v[12:13], v[4:5], v[12:13], v[38:39] op_sel:[0,0,1] op_sel_hi:[1,0,0] neg_lo:[1,0,0] neg_hi:[1,0,0]
	v_pk_mul_f32 v[38:39], v[4:5], v[10:11] op_sel:[0,1]
	v_mov_b32_e32 v41, v13
	s_waitcnt lgkmcnt(0)
	v_pk_add_f32 v[12:13], v[14:15], v[40:41] neg_lo:[0,1] neg_hi:[0,1]
	v_pk_fma_f32 v[40:41], v[4:5], v[10:11], v[38:39] op_sel:[0,0,1] op_sel_hi:[1,1,0]
	v_pk_fma_f32 v[4:5], v[4:5], v[10:11], v[38:39] op_sel:[0,0,1] op_sel_hi:[1,0,0] neg_lo:[1,0,0] neg_hi:[1,0,0]
	v_pk_fma_f32 v[14:15], v[14:15], 2.0, v[12:13] op_sel_hi:[1,0,1] neg_lo:[0,0,1] neg_hi:[0,0,1]
	v_mov_b32_e32 v41, v5
	v_pk_add_f32 v[4:5], v[8:9], v[40:41] neg_lo:[0,1] neg_hi:[0,1]
	s_nop 0
	v_pk_fma_f32 v[8:9], v[8:9], 2.0, v[4:5] op_sel_hi:[1,0,1] neg_lo:[0,0,1] neg_hi:[0,0,1]
	s_barrier
	ds_write2st64_b64 v48, v[8:9], v[4:5] offset1:2
	ds_write2st64_b64 v49, v[14:15], v[12:13] offset1:2
	;; [unrolled: 1-line block ×8, first 2 shown]
	v_mul_u32_u24_e32 v0, 15, v7
	v_lshlrev_b32_e32 v0, 3, v0
	s_waitcnt lgkmcnt(0)
	s_barrier
	global_load_dwordx4 v[8:11], v0, s[4:5] offset:80
	global_load_dwordx4 v[12:15], v0, s[4:5] offset:96
	;; [unrolled: 1-line block ×7, first 2 shown]
	global_load_dwordx2 v[52:53], v0, s[4:5] offset:176
	s_mul_i32 s4, s2, s18
	s_mov_b32 s5, s1
	s_lshl_b64 s[4:5], s[4:5], 3
	s_mul_i32 s2, s6, s26
	s_add_u32 s1, s14, s4
	s_addc_u32 s4, s15, s5
	s_lshl_b64 s[2:3], s[2:3], 3
	ds_read_b64 v[54:55], v43
	ds_read_b64 v[48:49], v44
	ds_read2_b32 v[50:51], v45 offset1:1
	ds_read_b64 v[56:57], v46
	ds_read_b64 v[58:59], v47
	ds_read2st64_b64 v[36:39], v6 offset0:36 offset1:40
	ds_read2st64_b64 v[40:43], v6 offset0:44 offset1:48
	;; [unrolled: 1-line block ×3, first 2 shown]
	ds_read_b64 v[60:61], v60
	ds_read_b64 v[62:63], v62
	ds_read_b64 v[64:65], v6 offset:30720
	s_add_u32 s2, s2, s1
	s_addc_u32 s3, s3, s4
	v_lshl_add_u64 v[0:1], v[2:3], 3, s[2:3]
	s_lshl_b32 s1, s16, 4
	v_lshl_add_u64 v[4:5], v[66:67], 3, v[0:1]
	v_add_u32_e32 v2, s1, v66
	s_waitcnt lgkmcnt(9)
	v_mov_b32_e32 v66, v49
	s_mov_b32 s2, 0x3f6c835e
	s_mov_b32 s4, 0x3ec3ef15
	s_waitcnt vmcnt(7)
	v_pk_mul_f32 v[68:69], v[10:11], v[48:49] op_sel_hi:[1,0]
	s_nop 0
	v_pk_fma_f32 v[66:67], v[10:11], v[66:67], v[68:69] op_sel:[0,0,1] op_sel_hi:[1,1,0] neg_lo:[0,0,1] neg_hi:[0,0,1]
	v_pk_fma_f32 v[68:69], v[10:11], v[48:49], v[68:69] op_sel:[0,1,1] op_sel_hi:[1,1,0]
	s_waitcnt lgkmcnt(1)
	v_mov_b32_e32 v11, v62
	s_waitcnt vmcnt(5)
	v_mov_b32_e32 v49, v16
	v_mov_b32_e32 v16, v13
	;; [unrolled: 1-line block ×5, first 2 shown]
	v_pk_mul_f32 v[12:13], v[16:17], v[62:63]
	v_mov_b32_e32 v7, v18
	v_pk_fma_f32 v[70:71], v[48:49], v[10:11], v[12:13]
	v_pk_mul_f32 v[10:11], v[16:17], v[10:11]
	v_mov_b32_e32 v18, v15
	v_pk_fma_f32 v[62:63], v[48:49], v[62:63], v[10:11] neg_lo:[0,0,1] neg_hi:[0,0,1]
	v_mov_b32_e32 v10, v56
	v_mov_b32_e32 v11, v60
	;; [unrolled: 1-line block ×3, first 2 shown]
	ds_read2st64_b64 v[48:51], v6 offset1:32
	v_pk_mul_f32 v[12:13], v[18:19], v[60:61]
	v_pk_mul_f32 v[16:17], v[18:19], v[10:11]
	v_mov_b32_e32 v6, v14
	v_pk_fma_f32 v[56:57], v[6:7], v[10:11], v[12:13]
	v_pk_fma_f32 v[60:61], v[6:7], v[60:61], v[16:17] neg_lo:[0,0,1] neg_hi:[0,0,1]
	v_mov_b32_e32 v7, v8
	v_mov_b32_e32 v10, v58
	;; [unrolled: 1-line block ×3, first 2 shown]
	s_waitcnt vmcnt(4)
	v_mov_b32_e32 v8, v21
	v_mov_b32_e32 v54, v59
	;; [unrolled: 1-line block ×3, first 2 shown]
	v_pk_mul_f32 v[12:13], v[8:9], v[54:55]
	v_pk_mul_f32 v[8:9], v[8:9], v[10:11]
	v_pk_fma_f32 v[58:59], v[6:7], v[10:11], v[12:13]
	v_pk_fma_f32 v[54:55], v[6:7], v[54:55], v[8:9] neg_lo:[0,0,1] neg_hi:[0,0,1]
	v_mov_b32_e32 v6, v23
	s_waitcnt lgkmcnt(0)
	v_pk_mul_f32 v[6:7], v[50:51], v[6:7] op_sel_hi:[1,0]
	s_waitcnt vmcnt(2)
	v_mov_b32_e32 v9, v28
	v_pk_fma_f32 v[72:73], v[50:51], v[22:23], v[6:7] op_sel:[0,0,1] op_sel_hi:[1,1,0]
	v_pk_fma_f32 v[18:19], v[50:51], v[22:23], v[6:7] op_sel:[0,0,1] op_sel_hi:[1,0,0] neg_lo:[0,0,1] neg_hi:[0,0,1]
	v_mov_b32_e32 v7, v36
	v_mov_b32_e32 v36, v45
	v_mov_b32_e32 v28, v25
	v_mov_b32_e32 v6, v44
	v_mov_b32_e32 v8, v24
	v_pk_mul_f32 v[10:11], v[36:37], v[28:29]
	v_mov_b32_e32 v13, v30
	v_pk_fma_f32 v[22:23], v[6:7], v[8:9], v[10:11]
	v_mov_b32_e32 v11, v38
	v_mov_b32_e32 v38, v47
	;; [unrolled: 1-line block ×3, first 2 shown]
	v_pk_mul_f32 v[6:7], v[6:7], v[28:29]
	v_mov_b32_e32 v10, v46
	v_pk_mul_f32 v[14:15], v[38:39], v[30:31]
	v_mov_b32_e32 v12, v26
	v_pk_fma_f32 v[24:25], v[36:37], v[8:9], v[6:7] neg_lo:[0,0,1] neg_hi:[0,0,1]
	v_pk_mul_f32 v[8:9], v[10:11], v[30:31]
	v_mov_b32_e32 v16, v43
	v_pk_fma_f32 v[28:29], v[10:11], v[12:13], v[14:15]
	s_waitcnt vmcnt(1)
	v_pk_mul_f32 v[10:11], v[42:43], v[34:35] op_sel_hi:[0,1]
	v_pk_fma_f32 v[30:31], v[16:17], v[34:35], v[10:11] op_sel:[0,0,1] op_sel_hi:[1,1,0] neg_lo:[0,0,1] neg_hi:[0,0,1]
	v_pk_fma_f32 v[20:21], v[42:43], v[34:35], v[10:11] op_sel:[1,0,1] op_sel_hi:[1,1,0]
	v_mov_b32_e32 v34, v64
	v_mov_b32_e32 v35, v40
	;; [unrolled: 1-line block ×4, first 2 shown]
	s_waitcnt vmcnt(0)
	v_mov_b32_e32 v32, v53
	v_pk_fma_f32 v[26:27], v[38:39], v[12:13], v[8:9] neg_lo:[0,0,1] neg_hi:[0,0,1]
	v_mov_b32_e32 v36, v52
	v_pk_mul_f32 v[38:39], v[40:41], v[32:33]
	v_pk_mul_f32 v[12:13], v[34:35], v[32:33]
	v_lshl_add_u64 v[6:7], v[2:3], 3, v[0:1]
	v_add_u32_e32 v2, s1, v2
	v_pk_fma_f32 v[32:33], v[40:41], v[36:37], v[12:13] neg_lo:[0,0,1] neg_hi:[0,0,1]
	v_mov_b32_e32 v73, v19
	v_pk_fma_f32 v[34:35], v[34:35], v[36:37], v[38:39]
	v_pk_add_f32 v[28:29], v[56:57], v[28:29] neg_lo:[0,1] neg_hi:[0,1]
	v_pk_add_f32 v[26:27], v[60:61], v[26:27] neg_lo:[0,1] neg_hi:[0,1]
	v_lshl_add_u64 v[8:9], v[2:3], 3, v[0:1]
	v_add_u32_e32 v2, s1, v2
	v_mov_b32_e32 v67, v69
	v_mov_b32_e32 v31, v21
	v_pk_add_f32 v[36:37], v[48:49], v[72:73] neg_lo:[0,1] neg_hi:[0,1]
	v_pk_add_f32 v[22:23], v[70:71], v[22:23] neg_lo:[0,1] neg_hi:[0,1]
	;; [unrolled: 1-line block ×5, first 2 shown]
	v_mov_b32_e32 v42, v61
	v_mov_b32_e32 v43, v57
	;; [unrolled: 1-line block ×4, first 2 shown]
	v_lshl_add_u64 v[10:11], v[2:3], 3, v[0:1]
	v_add_u32_e32 v2, s1, v2
	v_pk_add_f32 v[38:39], v[24:25], v[22:23] op_sel:[0,1] op_sel_hi:[1,0]
	v_pk_fma_f32 v[40:41], v[48:49], 2.0, v[36:37] op_sel_hi:[1,0,1] neg_lo:[0,0,1] neg_hi:[0,0,1]
	v_pk_fma_f32 v[42:43], v[42:43], 2.0, v[44:45] op_sel_hi:[1,0,1] neg_lo:[0,0,1] neg_hi:[0,0,1]
	v_pk_add_f32 v[44:45], v[24:25], v[22:23] op_sel:[0,1] op_sel_hi:[1,0] neg_lo:[0,1] neg_hi:[0,1]
	v_mov_b32_e32 v61, v56
	v_mov_b32_e32 v46, v26
	;; [unrolled: 1-line block ×16, first 2 shown]
	v_pk_add_f32 v[30:31], v[66:67], v[30:31] neg_lo:[0,1] neg_hi:[0,1]
	v_lshl_add_u64 v[12:13], v[2:3], 3, v[0:1]
	v_add_u32_e32 v2, s1, v2
	v_pk_fma_f32 v[46:47], v[60:61], 2.0, v[46:47] op_sel_hi:[1,0,1] neg_lo:[0,0,1] neg_hi:[0,0,1]
	v_pk_fma_f32 v[22:23], v[70:71], 2.0, v[22:23] op_sel_hi:[1,0,1] neg_lo:[0,0,1] neg_hi:[0,0,1]
	;; [unrolled: 1-line block ×6, first 2 shown]
	v_lshl_add_u64 v[14:15], v[2:3], 3, v[0:1]
	v_add_u32_e32 v2, s1, v2
	v_pk_add_f32 v[58:59], v[40:41], v[58:59] op_sel:[0,1] op_sel_hi:[1,0] neg_lo:[0,1] neg_hi:[0,1]
	v_pk_add_f32 v[46:47], v[42:43], v[46:47] neg_lo:[0,1] neg_hi:[0,1]
	v_pk_add_f32 v[22:23], v[48:49], v[22:23] neg_lo:[0,1] neg_hi:[0,1]
	;; [unrolled: 1-line block ×3, first 2 shown]
	v_lshl_add_u64 v[16:17], v[2:3], 3, v[0:1]
	v_add_u32_e32 v2, s1, v2
	v_pk_fma_f32 v[40:41], v[40:41], 2.0, v[58:59] op_sel_hi:[1,0,1] neg_lo:[0,0,1] neg_hi:[0,0,1]
	v_pk_fma_f32 v[42:43], v[42:43], 2.0, v[46:47] op_sel_hi:[1,0,1] neg_lo:[0,0,1] neg_hi:[0,0,1]
	;; [unrolled: 1-line block ×4, first 2 shown]
	v_lshl_add_u64 v[18:19], v[2:3], 3, v[0:1]
	v_add_u32_e32 v2, s1, v2
	v_pk_add_f32 v[42:43], v[40:41], v[42:43] op_sel:[0,1] op_sel_hi:[1,0] neg_lo:[0,1] neg_hi:[0,1]
	v_pk_add_f32 v[24:25], v[48:49], v[24:25] op_sel:[1,0] op_sel_hi:[0,1] neg_lo:[0,1] neg_hi:[0,1]
	v_lshl_add_u64 v[20:21], v[2:3], 3, v[0:1]
	v_add_u32_e32 v2, s1, v2
	v_pk_fma_f32 v[40:41], v[40:41], 2.0, v[42:43] op_sel_hi:[1,0,1] neg_lo:[0,0,1] neg_hi:[0,0,1]
	v_pk_fma_f32 v[48:49], v[48:49], 2.0, v[24:25] op_sel:[1,0,0] op_sel_hi:[0,0,1] neg_lo:[0,0,1] neg_hi:[0,0,1]
	v_lshl_add_u64 v[52:53], v[2:3], 3, v[0:1]
	v_add_u32_e32 v2, s1, v2
	v_pk_add_f32 v[48:49], v[40:41], v[48:49] op_sel:[0,1] op_sel_hi:[1,0] neg_lo:[0,1] neg_hi:[0,1]
	v_lshl_add_u64 v[56:57], v[2:3], 3, v[0:1]
	v_add_u32_e32 v2, s1, v2
	v_pk_fma_f32 v[40:41], v[40:41], 2.0, v[48:49] op_sel_hi:[1,0,1] neg_lo:[0,0,1] neg_hi:[0,0,1]
	global_store_dwordx2 v[4:5], v[40:41], off
	v_lshl_add_u64 v[4:5], v[2:3], 3, v[0:1]
	v_add_u32_e32 v2, s1, v2
	v_lshl_add_u64 v[40:41], v[2:3], 3, v[0:1]
	v_add_u32_e32 v2, s1, v2
	;; [unrolled: 2-line block ×4, first 2 shown]
	v_lshl_add_u64 v[0:1], v[2:3], 3, v[0:1]
	v_pk_add_f32 v[2:3], v[26:27], v[28:29] op_sel:[0,1] op_sel_hi:[1,0]
	v_pk_add_f32 v[64:65], v[26:27], v[28:29] op_sel:[0,1] op_sel_hi:[1,0] neg_lo:[0,1] neg_hi:[0,1]
	v_pk_add_f32 v[66:67], v[32:33], v[34:35] op_sel:[0,1] op_sel_hi:[1,0] neg_lo:[0,1] neg_hi:[0,1]
	v_mov_b32_e32 v3, v65
	v_pk_add_f32 v[64:65], v[32:33], v[34:35] op_sel:[0,1] op_sel_hi:[1,0]
	v_pk_mul_f32 v[68:69], v[2:3], s[0:1] op_sel_hi:[1,0]
	v_mov_b32_e32 v65, v67
	v_pk_add_f32 v[66:67], v[36:37], v[30:31]
	v_pk_add_f32 v[30:31], v[36:37], v[30:31] neg_lo:[0,1] neg_hi:[0,1]
	v_mov_b32_e32 v39, v45
	v_mov_b32_e32 v67, v31
	v_pk_fma_f32 v[70:71], v[2:3], s[0:1], v[66:67] op_sel_hi:[1,0,1]
	v_mov_b32_e32 v26, v29
	v_pk_add_f32 v[72:73], v[70:71], v[68:69] op_sel:[0,1] op_sel_hi:[1,0]
	v_pk_add_f32 v[68:69], v[70:71], v[68:69] op_sel:[0,1] op_sel_hi:[1,0] neg_lo:[0,1] neg_hi:[0,1]
	v_mov_b32_e32 v32, v35
	v_fma_f32 v76, v31, 2.0, -v69
	v_mov_b32_e32 v73, v69
	v_pk_mul_f32 v[30:31], v[64:65], s[0:1] op_sel_hi:[1,0]
	v_pk_fma_f32 v[68:69], v[64:65], s[0:1], v[38:39] op_sel_hi:[1,0,1]
	v_pk_fma_f32 v[2:3], v[26:27], 2.0, v[2:3] op_sel_hi:[1,0,1] neg_lo:[0,0,1] neg_hi:[0,0,1]
	v_pk_add_f32 v[70:71], v[68:69], v[30:31] op_sel:[0,1] op_sel_hi:[1,0]
	v_pk_add_f32 v[30:31], v[68:69], v[30:31] op_sel:[0,1] op_sel_hi:[1,0] neg_lo:[0,1] neg_hi:[0,1]
	v_pk_fma_f32 v[28:29], v[32:33], 2.0, v[64:65] op_sel_hi:[1,0,1] neg_lo:[0,0,1] neg_hi:[0,0,1]
	v_mov_b32_e32 v71, v31
	v_fma_f32 v77, v45, 2.0, -v31
	v_pk_fma_f32 v[30:31], v[70:71], s[2:3], v[72:73] op_sel_hi:[1,0,1]
	v_pk_mul_f32 v[44:45], v[70:71], s[4:5] op_sel_hi:[1,0]
	v_pk_fma_f32 v[32:33], v[36:37], 2.0, v[66:67] op_sel_hi:[1,0,1] neg_lo:[0,0,1] neg_hi:[0,0,1]
	v_pk_add_f32 v[68:69], v[30:31], v[44:45] op_sel:[0,1] op_sel_hi:[1,0]
	v_pk_add_f32 v[30:31], v[30:31], v[44:45] op_sel:[0,1] op_sel_hi:[1,0] neg_lo:[0,1] neg_hi:[0,1]
	v_pk_add_f32 v[44:45], v[58:59], v[46:47] neg_lo:[0,1] neg_hi:[0,1]
	v_mov_b32_e32 v69, v31
	v_pk_add_f32 v[30:31], v[58:59], v[46:47]
	v_pk_add_f32 v[46:47], v[22:23], v[54:55] neg_lo:[0,1] neg_hi:[0,1]
	v_mov_b32_e32 v31, v45
	v_pk_add_f32 v[44:45], v[22:23], v[54:55]
	v_pk_fma_f32 v[26:27], v[50:51], 2.0, v[38:39] op_sel_hi:[1,0,1] neg_lo:[0,0,1] neg_hi:[0,0,1]
	v_mov_b32_e32 v45, v47
	v_pk_mul_f32 v[46:47], v[44:45], s[0:1] op_sel_hi:[1,0]
	v_pk_fma_f32 v[54:55], v[44:45], s[0:1], v[30:31] op_sel_hi:[1,0,1]
	v_pk_mul_f32 v[34:35], v[2:3], s[0:1] op_sel_hi:[1,0]
	v_pk_fma_f32 v[2:3], v[2:3], s[0:1], v[32:33] op_sel_hi:[1,0,1] neg_lo:[1,0,0] neg_hi:[1,0,0]
	v_pk_add_f32 v[74:75], v[54:55], v[46:47] op_sel:[0,1] op_sel_hi:[1,0]
	v_pk_add_f32 v[46:47], v[54:55], v[46:47] op_sel:[0,1] op_sel_hi:[1,0] neg_lo:[0,1] neg_hi:[0,1]
	v_pk_add_f32 v[36:37], v[2:3], v[34:35] op_sel:[0,1] op_sel_hi:[1,0]
	v_pk_add_f32 v[2:3], v[2:3], v[34:35] op_sel:[0,1] op_sel_hi:[1,0] neg_lo:[0,1] neg_hi:[0,1]
	v_pk_mul_f32 v[34:35], v[28:29], s[0:1] op_sel_hi:[1,0]
	v_pk_fma_f32 v[28:29], v[28:29], s[0:1], v[26:27] op_sel_hi:[1,0,1] neg_lo:[1,0,0] neg_hi:[1,0,0]
	v_fma_f32 v46, v38, 2.0, -v70
	v_pk_add_f32 v[38:39], v[28:29], v[34:35] op_sel:[0,1] op_sel_hi:[1,0]
	v_pk_add_f32 v[28:29], v[28:29], v[34:35] op_sel:[0,1] op_sel_hi:[1,0] neg_lo:[0,1] neg_hi:[0,1]
	v_mov_b32_e32 v37, v3
	v_mov_b32_e32 v39, v29
	;; [unrolled: 1-line block ×3, first 2 shown]
	v_fma_f32 v47, v27, 2.0, -v29
	v_fma_f32 v50, v26, 2.0, -v38
	v_pk_fma_f32 v[26:27], v[38:39], s[4:5], v[36:37] op_sel_hi:[1,0,1]
	v_pk_mul_f32 v[28:29], v[38:39], s[2:3] op_sel_hi:[1,0]
	v_pk_fma_f32 v[22:23], v[22:23], 2.0, v[44:45] op_sel_hi:[1,0,1] neg_lo:[0,0,1] neg_hi:[0,0,1]
	v_pk_add_f32 v[34:35], v[26:27], v[28:29] op_sel:[0,1] op_sel_hi:[1,0]
	v_pk_add_f32 v[26:27], v[26:27], v[28:29] op_sel:[0,1] op_sel_hi:[1,0] neg_lo:[0,1] neg_hi:[0,1]
	v_pk_mul_f32 v[28:29], v[22:23], s[0:1] op_sel_hi:[1,0]
	v_mov_b32_e32 v35, v27
	v_pk_add_f32 v[26:27], v[42:43], v[24:25]
	v_pk_add_f32 v[24:25], v[42:43], v[24:25] neg_lo:[0,1] neg_hi:[0,1]
	v_fma_f32 v2, v66, 2.0, -v72
	v_mov_b32_e32 v27, v25
	v_pk_fma_f32 v[24:25], v[58:59], 2.0, v[30:31] op_sel_hi:[1,0,1] neg_lo:[0,0,1] neg_hi:[0,0,1]
	v_fma_f32 v33, v33, 2.0, -v3
	v_pk_fma_f32 v[22:23], v[22:23], s[0:1], v[24:25] op_sel_hi:[1,0,1] neg_lo:[1,0,0] neg_hi:[1,0,0]
	v_fma_f32 v32, v32, 2.0, -v36
	v_pk_add_f32 v[38:39], v[22:23], v[28:29] op_sel:[0,1] op_sel_hi:[1,0]
	v_pk_add_f32 v[22:23], v[22:23], v[28:29] op_sel:[0,1] op_sel_hi:[1,0] neg_lo:[0,1] neg_hi:[0,1]
	v_fmamk_f32 v3, v47, 0xbf6c835e, v33
	v_fmamk_f32 v22, v46, 0xbec3ef15, v2
	v_fmac_f32_e32 v22, 0x3f6c835e, v77
	v_fma_f32 v28, v2, 2.0, -v22
	v_fmamk_f32 v2, v50, 0xbf6c835e, v32
	v_fmac_f32_e32 v2, 0x3ec3ef15, v47
	v_fmac_f32_e32 v3, 0xbec3ef15, v50
	v_mov_b32_e32 v39, v23
	v_fmamk_f32 v23, v77, 0xbec3ef15, v76
	v_fma_f32 v32, v32, 2.0, -v2
	v_fma_f32 v33, v33, 2.0, -v3
	v_fmac_f32_e32 v23, 0xbf6c835e, v46
	global_store_dwordx2 v[6:7], v[32:33], off
	v_pk_fma_f32 v[6:7], v[24:25], 2.0, v[38:39] op_sel_hi:[1,0,1] neg_lo:[0,0,1] neg_hi:[0,0,1]
	v_fma_f32 v29, v76, 2.0, -v23
	global_store_dwordx2 v[8:9], v[6:7], off
	global_store_dwordx2 v[10:11], v[28:29], off
	v_pk_fma_f32 v[6:7], v[42:43], 2.0, v[26:27] op_sel_hi:[1,0,1] neg_lo:[0,0,1] neg_hi:[0,0,1]
	global_store_dwordx2 v[12:13], v[6:7], off
	v_pk_fma_f32 v[6:7], v[36:37], 2.0, v[34:35] op_sel_hi:[1,0,1] neg_lo:[0,0,1] neg_hi:[0,0,1]
	;; [unrolled: 2-line block ×4, first 2 shown]
	global_store_dwordx2 v[18:19], v[6:7], off
	global_store_dwordx2 v[20:21], v[48:49], off
	;; [unrolled: 1-line block ×9, first 2 shown]
	s_endpgm
	.section	.rodata,"a",@progbits
	.p2align	6, 0x0
	.amdhsa_kernel fft_rtc_back_len256_factors_8_2_16_wgs_256_tpt_16_dim3_sp_op_CI_CI_unitstride_sbrc_xy_z_aligned_dirReg
		.amdhsa_group_segment_fixed_size 0
		.amdhsa_private_segment_fixed_size 0
		.amdhsa_kernarg_size 96
		.amdhsa_user_sgpr_count 2
		.amdhsa_user_sgpr_dispatch_ptr 0
		.amdhsa_user_sgpr_queue_ptr 0
		.amdhsa_user_sgpr_kernarg_segment_ptr 1
		.amdhsa_user_sgpr_dispatch_id 0
		.amdhsa_user_sgpr_kernarg_preload_length 0
		.amdhsa_user_sgpr_kernarg_preload_offset 0
		.amdhsa_user_sgpr_private_segment_size 0
		.amdhsa_uses_dynamic_stack 0
		.amdhsa_enable_private_segment 0
		.amdhsa_system_sgpr_workgroup_id_x 1
		.amdhsa_system_sgpr_workgroup_id_y 0
		.amdhsa_system_sgpr_workgroup_id_z 0
		.amdhsa_system_sgpr_workgroup_info 0
		.amdhsa_system_vgpr_workitem_id 0
		.amdhsa_next_free_vgpr 78
		.amdhsa_next_free_sgpr 28
		.amdhsa_accum_offset 80
		.amdhsa_reserve_vcc 1
		.amdhsa_float_round_mode_32 0
		.amdhsa_float_round_mode_16_64 0
		.amdhsa_float_denorm_mode_32 3
		.amdhsa_float_denorm_mode_16_64 3
		.amdhsa_dx10_clamp 1
		.amdhsa_ieee_mode 1
		.amdhsa_fp16_overflow 0
		.amdhsa_tg_split 0
		.amdhsa_exception_fp_ieee_invalid_op 0
		.amdhsa_exception_fp_denorm_src 0
		.amdhsa_exception_fp_ieee_div_zero 0
		.amdhsa_exception_fp_ieee_overflow 0
		.amdhsa_exception_fp_ieee_underflow 0
		.amdhsa_exception_fp_ieee_inexact 0
		.amdhsa_exception_int_div_zero 0
	.end_amdhsa_kernel
	.text
.Lfunc_end0:
	.size	fft_rtc_back_len256_factors_8_2_16_wgs_256_tpt_16_dim3_sp_op_CI_CI_unitstride_sbrc_xy_z_aligned_dirReg, .Lfunc_end0-fft_rtc_back_len256_factors_8_2_16_wgs_256_tpt_16_dim3_sp_op_CI_CI_unitstride_sbrc_xy_z_aligned_dirReg
                                        ; -- End function
	.section	.AMDGPU.csdata,"",@progbits
; Kernel info:
; codeLenInByte = 4668
; NumSgprs: 34
; NumVgprs: 78
; NumAgprs: 0
; TotalNumVgprs: 78
; ScratchSize: 0
; MemoryBound: 0
; FloatMode: 240
; IeeeMode: 1
; LDSByteSize: 0 bytes/workgroup (compile time only)
; SGPRBlocks: 4
; VGPRBlocks: 9
; NumSGPRsForWavesPerEU: 34
; NumVGPRsForWavesPerEU: 78
; AccumOffset: 80
; Occupancy: 6
; WaveLimiterHint : 1
; COMPUTE_PGM_RSRC2:SCRATCH_EN: 0
; COMPUTE_PGM_RSRC2:USER_SGPR: 2
; COMPUTE_PGM_RSRC2:TRAP_HANDLER: 0
; COMPUTE_PGM_RSRC2:TGID_X_EN: 1
; COMPUTE_PGM_RSRC2:TGID_Y_EN: 0
; COMPUTE_PGM_RSRC2:TGID_Z_EN: 0
; COMPUTE_PGM_RSRC2:TIDIG_COMP_CNT: 0
; COMPUTE_PGM_RSRC3_GFX90A:ACCUM_OFFSET: 19
; COMPUTE_PGM_RSRC3_GFX90A:TG_SPLIT: 0
	.text
	.p2alignl 6, 3212836864
	.fill 256, 4, 3212836864
	.type	__hip_cuid_b115800d53a02a1c,@object ; @__hip_cuid_b115800d53a02a1c
	.section	.bss,"aw",@nobits
	.globl	__hip_cuid_b115800d53a02a1c
__hip_cuid_b115800d53a02a1c:
	.byte	0                               ; 0x0
	.size	__hip_cuid_b115800d53a02a1c, 1

	.ident	"AMD clang version 19.0.0git (https://github.com/RadeonOpenCompute/llvm-project roc-6.4.0 25133 c7fe45cf4b819c5991fe208aaa96edf142730f1d)"
	.section	".note.GNU-stack","",@progbits
	.addrsig
	.addrsig_sym __hip_cuid_b115800d53a02a1c
	.amdgpu_metadata
---
amdhsa.kernels:
  - .agpr_count:     0
    .args:
      - .actual_access:  read_only
        .address_space:  global
        .offset:         0
        .size:           8
        .value_kind:     global_buffer
      - .actual_access:  read_only
        .address_space:  global
        .offset:         8
        .size:           8
        .value_kind:     global_buffer
      - .actual_access:  read_only
        .address_space:  global
        .offset:         16
        .size:           8
        .value_kind:     global_buffer
      - .actual_access:  read_only
        .address_space:  global
        .offset:         24
        .size:           8
        .value_kind:     global_buffer
      - .offset:         32
        .size:           8
        .value_kind:     by_value
      - .actual_access:  read_only
        .address_space:  global
        .offset:         40
        .size:           8
        .value_kind:     global_buffer
      - .actual_access:  read_only
        .address_space:  global
        .offset:         48
        .size:           8
        .value_kind:     global_buffer
      - .offset:         56
        .size:           4
        .value_kind:     by_value
      - .actual_access:  read_only
        .address_space:  global
        .offset:         64
        .size:           8
        .value_kind:     global_buffer
      - .actual_access:  read_only
        .address_space:  global
        .offset:         72
        .size:           8
        .value_kind:     global_buffer
      - .actual_access:  read_only
        .address_space:  global
        .offset:         80
        .size:           8
        .value_kind:     global_buffer
      - .actual_access:  write_only
        .address_space:  global
        .offset:         88
        .size:           8
        .value_kind:     global_buffer
    .group_segment_fixed_size: 0
    .kernarg_segment_align: 8
    .kernarg_segment_size: 96
    .language:       OpenCL C
    .language_version:
      - 2
      - 0
    .max_flat_workgroup_size: 256
    .name:           fft_rtc_back_len256_factors_8_2_16_wgs_256_tpt_16_dim3_sp_op_CI_CI_unitstride_sbrc_xy_z_aligned_dirReg
    .private_segment_fixed_size: 0
    .sgpr_count:     34
    .sgpr_spill_count: 0
    .symbol:         fft_rtc_back_len256_factors_8_2_16_wgs_256_tpt_16_dim3_sp_op_CI_CI_unitstride_sbrc_xy_z_aligned_dirReg.kd
    .uniform_work_group_size: 1
    .uses_dynamic_stack: false
    .vgpr_count:     78
    .vgpr_spill_count: 0
    .wavefront_size: 64
amdhsa.target:   amdgcn-amd-amdhsa--gfx950
amdhsa.version:
  - 1
  - 2
...

	.end_amdgpu_metadata
